;; amdgpu-corpus repo=zjin-lcf/HeCBench kind=compiled arch=gfx1250 opt=O3
	.amdgcn_target "amdgcn-amd-amdhsa--gfx1250"
	.amdhsa_code_object_version 6
	.text
	.protected	_Z5colorPhiiff          ; -- Begin function _Z5colorPhiiff
	.globl	_Z5colorPhiiff
	.p2align	8
	.type	_Z5colorPhiiff,@function
_Z5colorPhiiff:                         ; @_Z5colorPhiiff
; %bb.0:
	s_load_b32 s2, s[0:1], 0x24
	s_bfe_u32 s4, ttmp6, 0x4000c
	s_bfe_u32 s5, ttmp6, 0x40010
	s_add_co_i32 s4, s4, 1
	s_add_co_i32 s5, s5, 1
	s_and_b32 s3, ttmp6, 15
	s_bfe_u32 s6, ttmp6, 0x40004
	s_mul_i32 s4, ttmp9, s4
	s_mul_i32 s5, ttmp7, s5
	s_getreg_b32 s7, hwreg(HW_REG_IB_STS2, 6, 4)
	v_bfe_u32 v1, v0, 10, 10
	v_and_b32_e32 v0, 0x3ff, v0
	s_add_co_i32 s3, s3, s4
	s_add_co_i32 s8, s6, s5
	s_wait_kmcnt 0x0
	s_and_b32 s9, s2, 0xffff
	s_lshr_b32 s2, s2, 16
	s_cmp_eq_u32 s7, 0
	s_load_b128 s[4:7], s[0:1], 0x8
	s_cselect_b32 s8, ttmp7, s8
	s_cselect_b32 s3, ttmp9, s3
	v_mad_u32 v34, s8, s2, v1
	v_mad_u32 v30, s3, s9, v0
	s_mov_b32 s2, exec_lo
	s_delay_alu instid0(VALU_DEP_1) | instskip(SKIP_1) | instid1(VALU_DEP_1)
	v_max_i32_e32 v0, v34, v30
	s_wait_kmcnt 0x0
	v_cmpx_gt_i32_e64 s4, v0
	s_cbranch_execz .LBB0_3
; %bb.1:
	v_cmp_ne_u32_e32 vcc_lo, s5, v30
	v_cmp_ne_u32_e64 s2, s5, v34
	s_and_b32 s2, s2, vcc_lo
	s_delay_alu instid0(SALU_CYCLE_1)
	s_and_b32 exec_lo, exec_lo, s2
	s_cbranch_execz .LBB0_3
; %bb.2:
	v_cvt_f32_i32_e32 v0, v34
	s_cvt_f32_i32 s3, s5
	v_cvt_f32_i32_e32 v1, v30
	s_mov_b32 s9, 0
	s_movk_i32 s8, 0xff
	v_div_scale_f32 v2, null, s3, s3, v0
	s_delay_alu instid0(VALU_DEP_2) | instskip(SKIP_1) | instid1(VALU_DEP_3)
	v_div_scale_f32 v3, null, s3, s3, v1
	v_div_scale_f32 v8, vcc_lo, v0, s3, v0
	v_rcp_f32_e32 v4, v2
	s_delay_alu instid0(VALU_DEP_2)
	v_rcp_f32_e32 v5, v3
	s_mov_b32 s18, s8
	s_mov_b32 s19, s9
	s_movk_i32 s17, 0x55
	s_mov_b32 s16, s9
	v_mov_b64_e32 v[50:51], s[18:19]
	v_fma_f32 v6, -v2, v4, 1.0
	v_fma_f32 v7, -v3, v5, 1.0
	v_mov_b64_e32 v[48:49], s[16:17]
	v_dual_mov_b32 v12, 51 :: v_dual_mov_b32 v15, 0x44
	s_delay_alu instid0(VALU_DEP_3)
	v_dual_fmac_f32 v4, v6, v4 :: v_dual_fmac_f32 v5, v7, v5
	v_div_scale_f32 v6, s2, v1, s3, v1
	s_clause 0x1
	scratch_store_b128 off, v[48:51], off offset:224
	scratch_store_b128 off, v[48:51], off offset:640
	v_mul_f32_e32 v7, v8, v4
	v_dual_mov_b32 v23, 0xcc :: v_dual_mov_b32 v26, 43
	v_mul_f32_e32 v9, v6, v5
	s_mov_b32 s10, s9
	s_delay_alu instid0(VALU_DEP_3)
	v_fma_f32 v10, -v2, v7, v8
	s_mov_b32 s11, s8
	s_movk_i32 s15, 0xaa
	v_fma_f32 v11, -v3, v9, v6
	s_mov_b32 s14, s9
	v_fmac_f32_e32 v7, v10, v4
	s_movk_i32 s12, 0xd5
	s_mov_b32 s13, s8
	v_fmac_f32_e32 v9, v11, v5
	s_mov_b32 s17, s8
	v_fma_f32 v2, -v2, v7, v8
	v_dual_mov_b32 v56, 0x74 :: v_dual_mov_b32 v21, 47
	s_delay_alu instid0(VALU_DEP_3) | instskip(NEXT) | instid1(VALU_DEP_3)
	v_fma_f32 v3, -v3, v9, v6
	v_div_fmas_f32 v2, v2, v4, v7
	s_mov_b32 vcc_lo, s2
	s_delay_alu instid0(VALU_DEP_2) | instskip(NEXT) | instid1(VALU_DEP_2)
	v_div_fmas_f32 v4, v3, v5, v9
	v_div_fixup_f32 v3, v2, s3, v0
	s_delay_alu instid0(VALU_DEP_2) | instskip(NEXT) | instid1(VALU_DEP_1)
	v_div_fixup_f32 v2, v4, s3, v1
	v_pk_fma_f32 v[0:1], s[6:7], v[2:3], s[6:7] op_sel_hi:[0,1,0] neg_lo:[0,0,1] neg_hi:[0,0,1]
	s_delay_alu instid0(VALU_DEP_1) | instskip(NEXT) | instid1(VALU_DEP_2)
	v_div_scale_f32 v2, null, s7, s7, v1
	v_div_scale_f32 v3, null, s7, s7, v0
	v_div_scale_f32 v8, vcc_lo, v1, s7, v1
	s_delay_alu instid0(VALU_DEP_3) | instskip(NEXT) | instid1(VALU_DEP_2)
	v_rcp_f32_e32 v4, v2
	v_rcp_f32_e32 v5, v3
	s_delay_alu instid0(TRANS32_DEP_2) | instskip(NEXT) | instid1(TRANS32_DEP_1)
	v_fma_f32 v6, -v2, v4, 1.0
	v_fma_f32 v7, -v3, v5, 1.0
	s_delay_alu instid0(VALU_DEP_1) | instskip(SKIP_1) | instid1(VALU_DEP_1)
	v_dual_fmac_f32 v4, v6, v4 :: v_dual_fmac_f32 v5, v7, v5
	v_div_scale_f32 v6, s2, v0, s7, v0
	v_dual_mul_f32 v7, v8, v4 :: v_dual_mul_f32 v9, v6, v5
	s_delay_alu instid0(VALU_DEP_1) | instskip(NEXT) | instid1(VALU_DEP_1)
	v_dual_fma_f32 v10, -v2, v7, v8 :: v_dual_fma_f32 v11, -v3, v9, v6
	v_dual_fmac_f32 v7, v10, v4 :: v_dual_fmac_f32 v9, v11, v5
	s_delay_alu instid0(VALU_DEP_1) | instskip(NEXT) | instid1(VALU_DEP_1)
	v_dual_fma_f32 v2, -v2, v7, v8 :: v_dual_fma_f32 v3, -v3, v9, v6
	v_div_fmas_f32 v2, v2, v4, v7
	s_mov_b32 vcc_lo, s2
	s_mov_b32 s2, 0x3b2d2a58
	s_delay_alu instid0(VALU_DEP_2) | instskip(NEXT) | instid1(VALU_DEP_2)
	v_div_fmas_f32 v3, v3, v5, v9
	v_div_fixup_f32 v33, v2, s7, v1
	v_dual_mov_b32 v1, 0 :: v_dual_mov_b32 v2, 0xff
	s_delay_alu instid0(VALU_DEP_3) | instskip(SKIP_1) | instid1(VALU_DEP_3)
	v_div_fixup_f32 v32, v3, s7, v0
	v_dual_mov_b32 v0, 17 :: v_dual_mov_b32 v3, 34
	v_dual_mov_b32 v10, v1 :: v_dual_mov_b32 v47, 0xba
	s_delay_alu instid0(VALU_DEP_4) | instskip(NEXT) | instid1(VALU_DEP_4)
	v_mov_b32_e32 v14, v2
	v_max_num_f32_e64 v4, |v32|, |v33|
	v_min_num_f32_e64 v6, |v32|, |v33|
	s_wait_xcnt 0x0
	v_dual_mov_b32 v50, 0xa3 :: v_dual_mov_b32 v11, v2
	v_dual_mov_b32 v13, v1 :: v_dual_mov_b32 v16, v1
	v_frexp_mant_f32_e32 v5, v4
	v_frexp_exp_i32_f32_e32 v4, v4
	v_frexp_exp_i32_f32_e32 v7, v6
	v_frexp_mant_f32_e32 v8, v6
	v_mov_b32_e32 v9, 0x88
	v_rcp_f32_e32 v5, v5
	v_mov_b32_e32 v6, 0x77
	v_dual_mov_b32 v17, v2 :: v_dual_sub_nc_u32 v4, v7, v4
	v_dual_mov_b32 v19, v1 :: v_dual_mov_b32 v25, v2
	s_delay_alu instid0(TRANS32_DEP_1)
	v_dual_mov_b32 v22, v2 :: v_dual_mul_f32 v5, v8, v5
	v_dual_mov_b32 v53, 0x8c :: v_dual_mov_b32 v24, v1
	s_clause 0x1
	scratch_store_b128 off, v[10:13], off offset:32
	scratch_store_b128 off, v[14:17], off offset:48
	v_ldexp_f32 v4, v5, v4
	v_mov_b32_e32 v18, 0xbb
	v_cmp_gt_f32_e64 vcc_lo, |v33|, |v32|
	v_dual_mov_b32 v38, 0xbf :: v_dual_mov_b32 v27, v2
	s_delay_alu instid0(VALU_DEP_4)
	v_mul_f32_e32 v5, v4, v4
	s_clause 0x1
	scratch_store_b128 off, v[16:19], off offset:128
	scratch_store_b128 off, v[22:25], off offset:144
	s_wait_xcnt 0x1
	v_dual_mov_b32 v16, 24 :: v_dual_mov_b32 v43, 0xe8
	v_dual_mov_b32 v28, v1 :: v_dual_fmaak_f32 v7, s2, v5, 0xbc7a590c
	v_dual_mov_b32 v44, 0xd1 :: v_dual_mov_b32 v29, v1
	v_dual_mov_b32 v59, 0x5d :: v_dual_mov_b32 v36, v1
	s_delay_alu instid0(VALU_DEP_3)
	v_fmaak_f32 v7, v5, v7, 0x3d29fb3f
	v_dual_mov_b32 v39, v1 :: v_dual_mov_b32 v41, v2
	s_clause 0x1
	scratch_store_b32 off, v26, off offset:656
	scratch_store_b128 off, v[26:29], off offset:240
	v_cmp_class_f32_e64 s3, v32, 0x204
	v_fmaak_f32 v7, v5, v7, 0xbd97d4d7
	v_dual_mov_b32 v46, v1 :: v_dual_mov_b32 v48, v2
	s_wait_xcnt 0x2
	v_dual_mov_b32 v24, 39 :: v_dual_mov_b32 v54, v2
	v_mov_b32_e32 v57, v2
	v_dual_fmaak_f32 v7, v5, v7, 0x3dd931b2 :: v_dual_mov_b32 v60, v2
	v_dual_mov_b32 v61, v1 :: v_dual_mov_b32 v40, v2
	v_mov_b32_e32 v18, 0x46
	s_delay_alu instid0(VALU_DEP_3)
	v_fmaak_f32 v7, v5, v7, 0xbe1160e6
	v_dual_mov_b32 v20, v1 :: v_dual_mov_b32 v23, v2
	s_wait_xcnt 0x0
	v_dual_mov_b32 v25, v1 :: v_dual_mov_b32 v27, 58
	v_mov_b32_e32 v12, 0x75
	v_fmaak_f32 v7, v5, v7, 0x3e4cb8bf
	v_dual_mov_b32 v37, v2 :: v_dual_mov_b32 v26, v2
	v_mov_b32_e32 v29, v2
	s_load_b64 s[6:7], s[0:1], 0x0
	s_delay_alu instid0(VALU_DEP_3)
	v_fmaak_f32 v7, v5, v7, 0xbeaaaa62
	v_mov_b32_e32 v42, v1
	scratch_store_b128 off, v[36:39], off offset:288
	s_wait_xcnt 0x0
	v_dual_mov_b32 v38, v1 :: v_dual_mov_b32 v39, v2
	v_mul_f32_e32 v5, v5, v7
	scratch_store_b128 off, v[40:43], off offset:304
	s_wait_xcnt 0x0
	v_dual_mov_b32 v43, v1 :: v_dual_mov_b32 v45, v2
	v_dual_mov_b32 v40, v1 :: v_dual_fmac_f32 v4, v4, v5
	v_dual_mov_b32 v42, v2 :: v_dual_mov_b32 v52, v1
	v_dual_mov_b32 v51, v2 :: v_dual_mov_b32 v58, v1
	s_delay_alu instid0(VALU_DEP_3)
	v_sub_f32_e32 v5, 0x3fc90fdb, v4
	v_dual_mov_b32 v55, v1 :: v_dual_mov_b32 v8, v2
	s_clause 0x1
	scratch_store_b128 off, v[50:53], off offset:352
	scratch_store_b128 off, v[58:61], off offset:384
	v_cndmask_b32_e32 v4, v4, v5, vcc_lo
	v_cmp_lt_f32_e32 vcc_lo, 0, v32
	scratch_store_b128 off, v[54:57], off offset:368
	s_wait_xcnt 0x0
	v_mov_b64_e32 v[58:59], s[14:15]
	v_mov_b64_e32 v[56:57], s[12:13]
	v_sub_f32_e32 v5, 0x40490fdb, v4
	v_mov_b32_e32 v7, 0x4016cbe4
	v_mov_b64_e32 v[54:55], s[18:19]
	v_mov_b64_e32 v[52:53], s[16:17]
	s_delay_alu instid0(VALU_DEP_4) | instskip(SKIP_4) | instid1(VALU_DEP_4)
	v_dual_mov_b32 v22, v1 :: v_dual_cndmask_b32 v4, v4, v5, vcc_lo
	v_xor_b32_e32 v5, 0x80000000, v32
	v_cndmask_b32_e32 v7, 0x3f490fdb, v7, vcc_lo
	v_cmp_eq_f32_e32 vcc_lo, 0, v33
	v_mov_b32_e32 v36, v2
	v_cmp_gt_i32_e64 s2, 0, v5
	s_delay_alu instid0(VALU_DEP_1) | instskip(SKIP_1) | instid1(VALU_DEP_2)
	v_cndmask_b32_e64 v5, 0, 0x40490fdb, s2
	v_cmp_class_f32_e64 s2, v33, 0x204
	v_dual_mov_b32 v49, v1 :: v_dual_cndmask_b32 v4, v4, v5
	s_and_b32 vcc_lo, s2, s3
	v_mov_b32_e32 v37, 0x89
	v_xor_b32_e32 v5, 0x80000000, v33
	s_clause 0x1
	scratch_store_b128 off, v[42:45], off offset:320
	scratch_store_b128 off, v[46:49], off offset:336
	v_cndmask_b32_e32 v4, v4, v7, vcc_lo
	v_cmp_o_f32_e32 vcc_lo, v32, v33
	s_wait_xcnt 0x1
	v_mov_b32_e32 v42, 0xc4
	s_wait_xcnt 0x0
	v_mov_b64_e32 v[50:51], s[10:11]
	v_mov_b64_e32 v[48:49], s[8:9]
	v_mov_b32_e32 v45, 0xd7
	v_dual_cndmask_b32 v4, 0x7fc00000, v4 :: v_dual_mov_b32 v7, v1
	s_clause 0x1
	scratch_store_b128 off, v[48:51], off
	scratch_store_b128 off, v[0:3], off offset:16
	v_bfi_b32 v31, 0x7fffffff, v4, v5
	s_wait_xcnt 0x0
	v_dual_mov_b32 v5, v2 :: v_dual_mov_b32 v0, 0x55
	v_mov_b32_e32 v3, 0x66
	v_mov_b32_e32 v47, v2
	v_div_scale_f32 v13, null, 0x40490fdb, 0x40490fdb, v31
	v_div_scale_f32 v15, vcc_lo, v31, 0x40490fdb, v31
	v_mov_b32_e32 v44, v2
	s_delay_alu instid0(VALU_DEP_3) | instskip(SKIP_2) | instid1(TRANS32_DEP_1)
	v_rcp_f32_e32 v14, v13
	s_movk_i32 s10, 0x80
	v_nop
	v_fma_f32 v4, -v13, v14, 1.0
	s_delay_alu instid0(VALU_DEP_1)
	v_dual_mov_b32 v19, v2 :: v_dual_fmac_f32 v14, v4, v14
	v_mov_b32_e32 v4, v1
	scratch_store_b128 off, v[18:21], off offset:400
	s_wait_xcnt 0x0
	v_mov_b64_e32 v[20:21], s[10:11]
	v_mov_b64_e32 v[18:19], s[8:9]
	v_mul_f32_e32 v17, v15, v14
	s_delay_alu instid0(VALU_DEP_1) | instskip(NEXT) | instid1(VALU_DEP_1)
	v_fma_f32 v11, -v13, v17, v15
	v_dual_fmac_f32 v17, v11, v14 :: v_dual_mov_b32 v11, v2
	scratch_store_b128 off, v[0:3], off offset:64
	s_wait_xcnt 0x0
	v_mov_b32_e32 v0, 0x99
	v_mov_b32_e32 v3, 0xaa
	v_fma_f32 v13, -v13, v17, v15
	scratch_store_b128 off, v[8:11], off offset:96
	v_mov_b32_e32 v15, v1
	scratch_store_b128 off, v[0:3], off offset:112
	s_wait_xcnt 0x1
	v_div_fmas_f32 v8, v13, v14, v17
	s_wait_xcnt 0x0
	v_mov_b32_e32 v0, 0xdd
	v_dual_mov_b32 v3, 0xee :: v_dual_mov_b32 v14, v2
	v_mov_b32_e32 v17, v2
	v_div_fixup_f32 v8, v8, 0x40490fdb, v31
	v_mov_b32_e32 v13, v1
	scratch_store_b128 off, v[0:3], off offset:160
	s_wait_xcnt 0x0
	v_dual_mov_b32 v3, 0x7f :: v_dual_mov_b32 v0, 63
	v_add_f32_e32 v8, 1.0, v8
	s_clause 0x1
	scratch_store_b128 off, v[48:51], off offset:256
	scratch_store_b128 off, v[0:3], off offset:272
	s_wait_xcnt 0x0
	v_dual_mov_b32 v3, 19 :: v_dual_mov_b32 v0, v1
	v_mul_f32_e32 v9, 0.5, v8
	s_clause 0x3
	scratch_store_b128 off, v[22:25], off offset:448
	scratch_store_b128 off, v[26:29], off offset:464
	;; [unrolled: 1-line block ×4, first 2 shown]
	s_wait_xcnt 0x0
	v_mov_b32_e32 v0, 0x4e
	v_dual_mul_f32 v8, 0x42580000, v9 :: v_dual_ashrrev_i32 v31, 31, v30
	s_delay_alu instid0(VALU_DEP_1) | instskip(NEXT) | instid1(VALU_DEP_1)
	v_cvt_i32_f32_e32 v14, v8
	v_dual_mov_b32 v3, 0x62 :: v_dual_add_nc_u32 v8, 1, v14
	s_clause 0x4
	scratch_store_b128 off, v[40:43], off offset:544
	scratch_store_b128 off, v[44:47], off offset:560
	;; [unrolled: 1-line block ×5, first 2 shown]
	s_wait_xcnt 0x0
	v_mov_b32_e32 v0, 0x9c
	v_mov_b32_e32 v3, 0xb0
	s_clause 0x4
	scratch_store_b128 off, v[56:59], off offset:608
	scratch_store_b128 off, v[18:21], off offset:624
	;; [unrolled: 1-line block ×5, first 2 shown]
	s_wait_xcnt 0x0
	v_mul_hi_i32 v5, 0x94f2095, v8
	v_dual_mov_b32 v0, 0xeb :: v_dual_mov_b32 v3, v2
	s_clause 0x3
	scratch_store_b128 off, v[52:55], off offset:176
	scratch_store_b128 off, v[10:13], off offset:496
	;; [unrolled: 1-line block ×4, first 2 shown]
	scratch_load_b96 v[2:4], v14, off scale_offset
	v_dual_lshrrev_b32 v0, 31, v5 :: v_dual_lshrrev_b32 v1, 1, v5
	s_delay_alu instid0(VALU_DEP_1) | instskip(NEXT) | instid1(VALU_DEP_1)
	v_add_nc_u32_e32 v0, v1, v0
	v_mul_lo_u32 v0, v0, 55
	s_delay_alu instid0(VALU_DEP_1) | instskip(SKIP_3) | instid1(VALU_DEP_1)
	v_sub_nc_u32_e32 v0, v8, v0
	scratch_load_b96 v[6:8], v0, off scale_offset
	s_wait_xcnt 0x0
	v_pk_mul_f32 v[0:1], v[32:33], v[32:33]
	v_add_f32_e32 v0, v1, v0
	s_delay_alu instid0(VALU_DEP_1) | instskip(SKIP_1) | instid1(VALU_DEP_1)
	v_mul_f32_e32 v1, 0x4f800000, v0
	v_cmp_gt_f32_e64 s2, 0xf800000, v0
	v_cndmask_b32_e64 v5, v0, v1, s2
	v_mad_nc_i64_i32 v[0:1], v34, s4, v[30:31]
	s_delay_alu instid0(VALU_DEP_2) | instskip(SKIP_1) | instid1(TRANS32_DEP_1)
	v_sqrt_f32_e32 v10, v5
	v_nop
	v_dual_add_nc_u32 v11, -1, v10 :: v_dual_add_nc_u32 v12, 1, v10
	s_delay_alu instid0(VALU_DEP_1) | instskip(NEXT) | instid1(VALU_DEP_1)
	v_dual_fma_f32 v13, -v11, v10, v5 :: v_dual_fma_f32 v15, -v12, v10, v5
	v_cmp_ge_f32_e32 vcc_lo, 0, v13
	v_cndmask_b32_e32 v10, v10, v11, vcc_lo
	v_cvt_f32_i32_e32 v11, v14
	s_delay_alu instid0(VALU_DEP_4) | instskip(NEXT) | instid1(VALU_DEP_2)
	v_cmp_lt_f32_e32 vcc_lo, 0, v15
	v_fma_f32 v9, 0x42580000, v9, -v11
	s_delay_alu instid0(VALU_DEP_4) | instskip(SKIP_4) | instid1(VALU_DEP_3)
	v_cndmask_b32_e32 v10, v10, v12, vcc_lo
	s_wait_loadcnt 0x1
	v_cvt_f32_i32_e32 v2, v2
	v_cvt_f32_i32_e32 v3, v3
	;; [unrolled: 1-line block ×3, first 2 shown]
	v_div_scale_f32 v13, null, 0x437f0000, 0x437f0000, v2
	s_delay_alu instid0(VALU_DEP_3) | instskip(NEXT) | instid1(VALU_DEP_3)
	v_div_scale_f32 v14, null, 0x437f0000, 0x437f0000, v3
	v_div_scale_f32 v16, null, 0x437f0000, 0x437f0000, v4
	s_delay_alu instid0(VALU_DEP_3) | instskip(NEXT) | instid1(VALU_DEP_2)
	v_rcp_f32_e32 v17, v13
	v_rcp_f32_e32 v11, v14
	v_div_scale_f32 v15, vcc_lo, v2, 0x437f0000, v2
	s_delay_alu instid0(VALU_DEP_2) | instskip(SKIP_1) | instid1(TRANS32_DEP_3)
	v_rcp_f32_e32 v12, v16
	v_div_scale_f32 v19, s0, v3, 0x437f0000, v3
	v_fma_f32 v18, -v13, v17, 1.0
	s_delay_alu instid0(TRANS32_DEP_2) | instskip(NEXT) | instid1(TRANS32_DEP_1)
	v_fma_f32 v20, -v14, v11, 1.0
	v_fma_f32 v21, -v16, v12, 1.0
	s_delay_alu instid0(VALU_DEP_2) | instskip(SKIP_1) | instid1(VALU_DEP_3)
	v_dual_fmac_f32 v17, v18, v17 :: v_dual_fmac_f32 v11, v20, v11
	v_div_scale_f32 v18, s1, v4, 0x437f0000, v4
	v_fmac_f32_e32 v12, v21, v12
	s_delay_alu instid0(VALU_DEP_3) | instskip(NEXT) | instid1(VALU_DEP_4)
	v_dual_mul_f32 v20, 0x37800000, v10 :: v_dual_mul_f32 v21, v15, v17
	v_dual_sub_f32 v22, 1.0, v9 :: v_dual_mul_f32 v23, v19, v11
	s_wait_loadcnt 0x0
	v_cvt_f32_i32_e32 v6, v6
	v_cvt_f32_i32_e32 v8, v8
	;; [unrolled: 1-line block ×3, first 2 shown]
	v_dual_mul_f32 v24, v18, v12 :: v_dual_fma_f32 v25, -v13, v21, v15
	s_delay_alu instid0(VALU_DEP_4) | instskip(NEXT) | instid1(VALU_DEP_4)
	v_div_scale_f32 v26, null, 0x437f0000, 0x437f0000, v6
	v_div_scale_f32 v28, null, 0x437f0000, 0x437f0000, v8
	s_delay_alu instid0(VALU_DEP_4) | instskip(NEXT) | instid1(VALU_DEP_3)
	v_div_scale_f32 v27, null, 0x437f0000, 0x437f0000, v7
	v_rcp_f32_e32 v31, v26
	s_delay_alu instid0(VALU_DEP_2) | instskip(SKIP_1) | instid1(VALU_DEP_2)
	v_rcp_f32_e32 v33, v28
	v_dual_fma_f32 v29, -v14, v23, v19 :: v_dual_fma_f32 v30, -v16, v24, v18
	v_rcp_f32_e32 v32, v27
	v_div_scale_f32 v34, s3, v6, 0x437f0000, v6
	s_delay_alu instid0(TRANS32_DEP_3) | instskip(NEXT) | instid1(TRANS32_DEP_2)
	v_fma_f32 v36, -v26, v31, 1.0
	v_fma_f32 v38, -v28, v33, 1.0
	v_div_scale_f32 v39, s5, v8, 0x437f0000, v8
	s_delay_alu instid0(TRANS32_DEP_1) | instskip(NEXT) | instid1(VALU_DEP_3)
	v_fma_f32 v37, -v27, v32, 1.0
	v_dual_fmac_f32 v31, v36, v31 :: v_dual_fmac_f32 v33, v38, v33
	v_fmac_f32_e32 v23, v29, v11
	v_div_scale_f32 v35, s4, v7, 0x437f0000, v7
	s_delay_alu instid0(VALU_DEP_4) | instskip(NEXT) | instid1(VALU_DEP_4)
	v_fmac_f32_e32 v32, v37, v32
	v_dual_fmac_f32 v21, v25, v17 :: v_dual_mul_f32 v25, v34, v31
	v_dual_mul_f32 v36, v39, v33 :: v_dual_fmac_f32 v24, v30, v12
	s_delay_alu instid0(VALU_DEP_2) | instskip(NEXT) | instid1(VALU_DEP_2)
	v_dual_mul_f32 v29, v35, v32 :: v_dual_fma_f32 v13, -v13, v21, v15
	v_dual_fma_f32 v15, -v26, v25, v34 :: v_dual_fma_f32 v37, -v28, v36, v39
	v_fma_f32 v14, -v14, v23, v19
	s_delay_alu instid0(VALU_DEP_3) | instskip(NEXT) | instid1(VALU_DEP_4)
	v_dual_fma_f32 v30, -v27, v29, v35 :: v_dual_fma_f32 v16, -v16, v24, v18
	v_div_fmas_f32 v13, v13, v17, v21
	s_delay_alu instid0(VALU_DEP_4) | instskip(SKIP_2) | instid1(VALU_DEP_3)
	v_dual_fmac_f32 v36, v37, v33 :: v_dual_fmac_f32 v25, v15, v31
	s_mov_b32 vcc_lo, s3
	v_cndmask_b32_e64 v10, v10, v20, s2
	v_div_fixup_f32 v2, v13, 0x437f0000, v2
	s_delay_alu instid0(VALU_DEP_3) | instskip(NEXT) | instid1(VALU_DEP_1)
	v_dual_fma_f32 v18, -v28, v36, v39 :: v_dual_fma_f32 v15, -v26, v25, v34
	v_div_fmas_f32 v15, v15, v31, v25
	s_mov_b32 vcc_lo, s0
	v_div_fmas_f32 v11, v14, v11, v23
	s_mov_b32 vcc_lo, s4
	s_delay_alu instid0(VALU_DEP_2) | instskip(SKIP_1) | instid1(VALU_DEP_3)
	v_div_fixup_f32 v6, v15, 0x437f0000, v6
	v_fmac_f32_e32 v29, v30, v32
	v_div_fixup_f32 v3, v11, 0x437f0000, v3
	s_delay_alu instid0(VALU_DEP_2) | instskip(NEXT) | instid1(VALU_DEP_1)
	v_dual_mul_f32 v6, v9, v6 :: v_dual_fma_f32 v17, -v27, v29, v35
	v_div_fmas_f32 v14, v17, v32, v29
	s_mov_b32 vcc_lo, s1
	v_div_fmas_f32 v12, v16, v12, v24
	s_mov_b32 vcc_lo, s5
	s_delay_alu instid0(VALU_DEP_2) | instskip(SKIP_3) | instid1(VALU_DEP_4)
	v_div_fixup_f32 v7, v14, 0x437f0000, v7
	v_div_fmas_f32 v15, v18, v33, v36
	v_cmp_class_f32_e64 vcc_lo, v5, 0x260
	v_div_fixup_f32 v4, v12, 0x437f0000, v4
	v_mul_f32_e32 v7, v9, v7
	s_delay_alu instid0(VALU_DEP_4) | instskip(NEXT) | instid1(VALU_DEP_1)
	v_div_fixup_f32 v8, v15, 0x437f0000, v8
	v_dual_fmac_f32 v6, v22, v2 :: v_dual_mul_f32 v2, v9, v8
	s_delay_alu instid0(VALU_DEP_3) | instskip(NEXT) | instid1(VALU_DEP_2)
	v_fmac_f32_e32 v7, v22, v3
	v_dual_cndmask_b32 v3, v10, v5, vcc_lo :: v_dual_sub_f32 v5, 1.0, v6
	v_mul_f32_e32 v6, 0x3f400000, v6
	s_delay_alu instid0(VALU_DEP_3) | instskip(SKIP_1) | instid1(VALU_DEP_4)
	v_dual_fmac_f32 v2, v22, v4 :: v_dual_sub_f32 v4, 1.0, v7
	v_mul_f32_e32 v7, 0x3f400000, v7
	v_fma_f32 v5, -v3, v5, 1.0
	v_cmp_nge_f32_e32 vcc_lo, 1.0, v3
	s_delay_alu instid0(VALU_DEP_4) | instskip(SKIP_1) | instid1(VALU_DEP_2)
	v_fma_f32 v4, -v3, v4, 1.0
	v_sub_f32_e32 v8, 1.0, v2
	v_dual_cndmask_b32 v5, v5, v6 :: v_dual_cndmask_b32 v4, v4, v7
	s_delay_alu instid0(VALU_DEP_2) | instskip(SKIP_3) | instid1(VALU_DEP_2)
	v_fma_f32 v6, -v3, v8, 1.0
	v_mul_f32_e32 v8, 0x3f400000, v2
	s_wait_kmcnt 0x0
	v_mad_nc_u64_u32 v[2:3], v0, 3, s[6:7]
	v_cndmask_b32_e32 v0, v6, v8, vcc_lo
	v_mul_f32_e32 v4, 0x437f0000, v4
	s_delay_alu instid0(VALU_DEP_2) | instskip(NEXT) | instid1(VALU_DEP_4)
	v_mul_f32_e32 v0, 0x437f0000, v0
	v_mad_u32 v3, v1, 3, v3
	v_mul_f32_e32 v1, 0x437f0000, v5
	s_delay_alu instid0(VALU_DEP_4) | instskip(NEXT) | instid1(VALU_DEP_4)
	v_cvt_i32_f32_e32 v4, v4
	v_cvt_i32_f32_e32 v0, v0
	s_delay_alu instid0(VALU_DEP_3) | instskip(NEXT) | instid1(VALU_DEP_3)
	v_cvt_i32_f32_e32 v1, v1
	v_lshlrev_b16 v4, 8, v4
	s_delay_alu instid0(VALU_DEP_1)
	v_bitop3_b16 v0, v0, v4, 0xff bitop3:0xec
	s_clause 0x1
	global_store_b8 v[2:3], v1, off offset:2
	global_store_b16 v[2:3], v0, off
.LBB0_3:
	s_endpgm
	.section	.rodata,"a",@progbits
	.p2align	6, 0x0
	.amdhsa_kernel _Z5colorPhiiff
		.amdhsa_group_segment_fixed_size 0
		.amdhsa_private_segment_fixed_size 672
		.amdhsa_kernarg_size 280
		.amdhsa_user_sgpr_count 2
		.amdhsa_user_sgpr_dispatch_ptr 0
		.amdhsa_user_sgpr_queue_ptr 0
		.amdhsa_user_sgpr_kernarg_segment_ptr 1
		.amdhsa_user_sgpr_dispatch_id 0
		.amdhsa_user_sgpr_kernarg_preload_length 0
		.amdhsa_user_sgpr_kernarg_preload_offset 0
		.amdhsa_user_sgpr_private_segment_size 0
		.amdhsa_wavefront_size32 1
		.amdhsa_uses_dynamic_stack 0
		.amdhsa_enable_private_segment 1
		.amdhsa_system_sgpr_workgroup_id_x 1
		.amdhsa_system_sgpr_workgroup_id_y 1
		.amdhsa_system_sgpr_workgroup_id_z 0
		.amdhsa_system_sgpr_workgroup_info 0
		.amdhsa_system_vgpr_workitem_id 1
		.amdhsa_next_free_vgpr 62
		.amdhsa_next_free_sgpr 20
		.amdhsa_named_barrier_count 0
		.amdhsa_reserve_vcc 1
		.amdhsa_float_round_mode_32 0
		.amdhsa_float_round_mode_16_64 0
		.amdhsa_float_denorm_mode_32 3
		.amdhsa_float_denorm_mode_16_64 3
		.amdhsa_fp16_overflow 0
		.amdhsa_memory_ordered 1
		.amdhsa_forward_progress 1
		.amdhsa_inst_pref_size 27
		.amdhsa_round_robin_scheduling 0
		.amdhsa_exception_fp_ieee_invalid_op 0
		.amdhsa_exception_fp_denorm_src 0
		.amdhsa_exception_fp_ieee_div_zero 0
		.amdhsa_exception_fp_ieee_overflow 0
		.amdhsa_exception_fp_ieee_underflow 0
		.amdhsa_exception_fp_ieee_inexact 0
		.amdhsa_exception_int_div_zero 0
	.end_amdhsa_kernel
	.text
.Lfunc_end0:
	.size	_Z5colorPhiiff, .Lfunc_end0-_Z5colorPhiiff
                                        ; -- End function
	.set _Z5colorPhiiff.num_vgpr, 62
	.set _Z5colorPhiiff.num_agpr, 0
	.set _Z5colorPhiiff.numbered_sgpr, 20
	.set _Z5colorPhiiff.num_named_barrier, 0
	.set _Z5colorPhiiff.private_seg_size, 672
	.set _Z5colorPhiiff.uses_vcc, 1
	.set _Z5colorPhiiff.uses_flat_scratch, 1
	.set _Z5colorPhiiff.has_dyn_sized_stack, 0
	.set _Z5colorPhiiff.has_recursion, 0
	.set _Z5colorPhiiff.has_indirect_call, 0
	.section	.AMDGPU.csdata,"",@progbits
; Kernel info:
; codeLenInByte = 3436
; TotalNumSgprs: 22
; NumVgprs: 62
; ScratchSize: 672
; MemoryBound: 0
; FloatMode: 240
; IeeeMode: 1
; LDSByteSize: 0 bytes/workgroup (compile time only)
; SGPRBlocks: 0
; VGPRBlocks: 3
; NumSGPRsForWavesPerEU: 22
; NumVGPRsForWavesPerEU: 62
; NamedBarCnt: 0
; Occupancy: 16
; WaveLimiterHint : 0
; COMPUTE_PGM_RSRC2:SCRATCH_EN: 1
; COMPUTE_PGM_RSRC2:USER_SGPR: 2
; COMPUTE_PGM_RSRC2:TRAP_HANDLER: 0
; COMPUTE_PGM_RSRC2:TGID_X_EN: 1
; COMPUTE_PGM_RSRC2:TGID_Y_EN: 1
; COMPUTE_PGM_RSRC2:TGID_Z_EN: 0
; COMPUTE_PGM_RSRC2:TIDIG_COMP_CNT: 1
	.text
	.p2alignl 7, 3214868480
	.fill 96, 4, 3214868480
	.section	.AMDGPU.gpr_maximums,"",@progbits
	.set amdgpu.max_num_vgpr, 0
	.set amdgpu.max_num_agpr, 0
	.set amdgpu.max_num_sgpr, 0
	.text
	.type	__hip_cuid_3217fd408209b2c8,@object ; @__hip_cuid_3217fd408209b2c8
	.section	.bss,"aw",@nobits
	.globl	__hip_cuid_3217fd408209b2c8
__hip_cuid_3217fd408209b2c8:
	.byte	0                               ; 0x0
	.size	__hip_cuid_3217fd408209b2c8, 1

	.ident	"AMD clang version 22.0.0git (https://github.com/RadeonOpenCompute/llvm-project roc-7.2.4 26084 f58b06dce1f9c15707c5f808fd002e18c2accf7e)"
	.section	".note.GNU-stack","",@progbits
	.addrsig
	.addrsig_sym __hip_cuid_3217fd408209b2c8
	.amdgpu_metadata
---
amdhsa.kernels:
  - .args:
      - .address_space:  global
        .offset:         0
        .size:           8
        .value_kind:     global_buffer
      - .offset:         8
        .size:           4
        .value_kind:     by_value
      - .offset:         12
        .size:           4
        .value_kind:     by_value
      - .offset:         16
        .size:           4
        .value_kind:     by_value
      - .offset:         20
        .size:           4
        .value_kind:     by_value
      - .offset:         24
        .size:           4
        .value_kind:     hidden_block_count_x
      - .offset:         28
        .size:           4
        .value_kind:     hidden_block_count_y
      - .offset:         32
        .size:           4
        .value_kind:     hidden_block_count_z
      - .offset:         36
        .size:           2
        .value_kind:     hidden_group_size_x
      - .offset:         38
        .size:           2
        .value_kind:     hidden_group_size_y
      - .offset:         40
        .size:           2
        .value_kind:     hidden_group_size_z
      - .offset:         42
        .size:           2
        .value_kind:     hidden_remainder_x
      - .offset:         44
        .size:           2
        .value_kind:     hidden_remainder_y
      - .offset:         46
        .size:           2
        .value_kind:     hidden_remainder_z
      - .offset:         64
        .size:           8
        .value_kind:     hidden_global_offset_x
      - .offset:         72
        .size:           8
        .value_kind:     hidden_global_offset_y
      - .offset:         80
        .size:           8
        .value_kind:     hidden_global_offset_z
      - .offset:         88
        .size:           2
        .value_kind:     hidden_grid_dims
    .group_segment_fixed_size: 0
    .kernarg_segment_align: 8
    .kernarg_segment_size: 280
    .language:       OpenCL C
    .language_version:
      - 2
      - 0
    .max_flat_workgroup_size: 1024
    .name:           _Z5colorPhiiff
    .private_segment_fixed_size: 672
    .sgpr_count:     22
    .sgpr_spill_count: 0
    .symbol:         _Z5colorPhiiff.kd
    .uniform_work_group_size: 1
    .uses_dynamic_stack: false
    .vgpr_count:     62
    .vgpr_spill_count: 0
    .wavefront_size: 32
amdhsa.target:   amdgcn-amd-amdhsa--gfx1250
amdhsa.version:
  - 1
  - 2
...

	.end_amdgpu_metadata
